;; amdgpu-corpus repo=ROCm/rocFFT kind=compiled arch=gfx1100 opt=O3
	.text
	.amdgcn_target "amdgcn-amd-amdhsa--gfx1100"
	.amdhsa_code_object_version 6
	.protected	fft_rtc_back_len1872_factors_13_3_4_6_2_wgs_156_tpt_156_halfLds_dp_op_CI_CI_unitstride_sbrr_dirReg ; -- Begin function fft_rtc_back_len1872_factors_13_3_4_6_2_wgs_156_tpt_156_halfLds_dp_op_CI_CI_unitstride_sbrr_dirReg
	.globl	fft_rtc_back_len1872_factors_13_3_4_6_2_wgs_156_tpt_156_halfLds_dp_op_CI_CI_unitstride_sbrr_dirReg
	.p2align	8
	.type	fft_rtc_back_len1872_factors_13_3_4_6_2_wgs_156_tpt_156_halfLds_dp_op_CI_CI_unitstride_sbrr_dirReg,@function
fft_rtc_back_len1872_factors_13_3_4_6_2_wgs_156_tpt_156_halfLds_dp_op_CI_CI_unitstride_sbrr_dirReg: ; @fft_rtc_back_len1872_factors_13_3_4_6_2_wgs_156_tpt_156_halfLds_dp_op_CI_CI_unitstride_sbrr_dirReg
; %bb.0:
	s_clause 0x2
	s_load_b128 s[8:11], s[0:1], 0x0
	s_load_b128 s[4:7], s[0:1], 0x58
	;; [unrolled: 1-line block ×3, first 2 shown]
	v_mul_u32_u24_e32 v1, 0x1a5, v0
	v_mov_b32_e32 v4, 0
	v_mov_b32_e32 v5, 0
	s_delay_alu instid0(VALU_DEP_3) | instskip(NEXT) | instid1(VALU_DEP_1)
	v_lshrrev_b32_e32 v2, 16, v1
	v_dual_mov_b32 v1, 0 :: v_dual_add_nc_u32 v6, s15, v2
	s_delay_alu instid0(VALU_DEP_1) | instskip(SKIP_2) | instid1(VALU_DEP_1)
	v_mov_b32_e32 v7, v1
	s_waitcnt lgkmcnt(0)
	v_cmp_lt_u64_e64 s2, s[10:11], 2
	s_and_b32 vcc_lo, exec_lo, s2
	s_cbranch_vccnz .LBB0_8
; %bb.1:
	s_load_b64 s[2:3], s[0:1], 0x10
	v_mov_b32_e32 v4, 0
	v_mov_b32_e32 v5, 0
	s_add_u32 s12, s18, 8
	s_addc_u32 s13, s19, 0
	s_add_u32 s14, s16, 8
	s_addc_u32 s15, s17, 0
	v_dual_mov_b32 v77, v5 :: v_dual_mov_b32 v76, v4
	s_mov_b64 s[22:23], 1
	s_waitcnt lgkmcnt(0)
	s_add_u32 s20, s2, 8
	s_addc_u32 s21, s3, 0
.LBB0_2:                                ; =>This Inner Loop Header: Depth=1
	s_load_b64 s[24:25], s[20:21], 0x0
                                        ; implicit-def: $vgpr78_vgpr79
	s_mov_b32 s2, exec_lo
	s_waitcnt lgkmcnt(0)
	v_or_b32_e32 v2, s25, v7
	s_delay_alu instid0(VALU_DEP_1)
	v_cmpx_ne_u64_e32 0, v[1:2]
	s_xor_b32 s3, exec_lo, s2
	s_cbranch_execz .LBB0_4
; %bb.3:                                ;   in Loop: Header=BB0_2 Depth=1
	v_cvt_f32_u32_e32 v2, s24
	v_cvt_f32_u32_e32 v3, s25
	s_sub_u32 s2, 0, s24
	s_subb_u32 s26, 0, s25
	s_delay_alu instid0(VALU_DEP_1) | instskip(NEXT) | instid1(VALU_DEP_1)
	v_fmac_f32_e32 v2, 0x4f800000, v3
	v_rcp_f32_e32 v2, v2
	s_waitcnt_depctr 0xfff
	v_mul_f32_e32 v2, 0x5f7ffffc, v2
	s_delay_alu instid0(VALU_DEP_1) | instskip(NEXT) | instid1(VALU_DEP_1)
	v_mul_f32_e32 v3, 0x2f800000, v2
	v_trunc_f32_e32 v3, v3
	s_delay_alu instid0(VALU_DEP_1) | instskip(SKIP_1) | instid1(VALU_DEP_2)
	v_fmac_f32_e32 v2, 0xcf800000, v3
	v_cvt_u32_f32_e32 v3, v3
	v_cvt_u32_f32_e32 v2, v2
	s_delay_alu instid0(VALU_DEP_2) | instskip(NEXT) | instid1(VALU_DEP_2)
	v_mul_lo_u32 v8, s2, v3
	v_mul_hi_u32 v9, s2, v2
	v_mul_lo_u32 v10, s26, v2
	s_delay_alu instid0(VALU_DEP_2) | instskip(SKIP_1) | instid1(VALU_DEP_2)
	v_add_nc_u32_e32 v8, v9, v8
	v_mul_lo_u32 v9, s2, v2
	v_add_nc_u32_e32 v8, v8, v10
	s_delay_alu instid0(VALU_DEP_2) | instskip(NEXT) | instid1(VALU_DEP_2)
	v_mul_hi_u32 v10, v2, v9
	v_mul_lo_u32 v11, v2, v8
	v_mul_hi_u32 v12, v2, v8
	v_mul_hi_u32 v13, v3, v9
	v_mul_lo_u32 v9, v3, v9
	v_mul_hi_u32 v14, v3, v8
	v_mul_lo_u32 v8, v3, v8
	v_add_co_u32 v10, vcc_lo, v10, v11
	v_add_co_ci_u32_e32 v11, vcc_lo, 0, v12, vcc_lo
	s_delay_alu instid0(VALU_DEP_2) | instskip(NEXT) | instid1(VALU_DEP_2)
	v_add_co_u32 v9, vcc_lo, v10, v9
	v_add_co_ci_u32_e32 v9, vcc_lo, v11, v13, vcc_lo
	v_add_co_ci_u32_e32 v10, vcc_lo, 0, v14, vcc_lo
	s_delay_alu instid0(VALU_DEP_2) | instskip(NEXT) | instid1(VALU_DEP_2)
	v_add_co_u32 v8, vcc_lo, v9, v8
	v_add_co_ci_u32_e32 v9, vcc_lo, 0, v10, vcc_lo
	s_delay_alu instid0(VALU_DEP_2) | instskip(NEXT) | instid1(VALU_DEP_2)
	v_add_co_u32 v2, vcc_lo, v2, v8
	v_add_co_ci_u32_e32 v3, vcc_lo, v3, v9, vcc_lo
	s_delay_alu instid0(VALU_DEP_2) | instskip(SKIP_1) | instid1(VALU_DEP_3)
	v_mul_hi_u32 v8, s2, v2
	v_mul_lo_u32 v10, s26, v2
	v_mul_lo_u32 v9, s2, v3
	s_delay_alu instid0(VALU_DEP_1) | instskip(SKIP_1) | instid1(VALU_DEP_2)
	v_add_nc_u32_e32 v8, v8, v9
	v_mul_lo_u32 v9, s2, v2
	v_add_nc_u32_e32 v8, v8, v10
	s_delay_alu instid0(VALU_DEP_2) | instskip(NEXT) | instid1(VALU_DEP_2)
	v_mul_hi_u32 v10, v2, v9
	v_mul_lo_u32 v11, v2, v8
	v_mul_hi_u32 v12, v2, v8
	v_mul_hi_u32 v13, v3, v9
	v_mul_lo_u32 v9, v3, v9
	v_mul_hi_u32 v14, v3, v8
	v_mul_lo_u32 v8, v3, v8
	v_add_co_u32 v10, vcc_lo, v10, v11
	v_add_co_ci_u32_e32 v11, vcc_lo, 0, v12, vcc_lo
	s_delay_alu instid0(VALU_DEP_2) | instskip(NEXT) | instid1(VALU_DEP_2)
	v_add_co_u32 v9, vcc_lo, v10, v9
	v_add_co_ci_u32_e32 v9, vcc_lo, v11, v13, vcc_lo
	v_add_co_ci_u32_e32 v10, vcc_lo, 0, v14, vcc_lo
	s_delay_alu instid0(VALU_DEP_2) | instskip(NEXT) | instid1(VALU_DEP_2)
	v_add_co_u32 v8, vcc_lo, v9, v8
	v_add_co_ci_u32_e32 v9, vcc_lo, 0, v10, vcc_lo
	s_delay_alu instid0(VALU_DEP_2) | instskip(NEXT) | instid1(VALU_DEP_2)
	v_add_co_u32 v10, vcc_lo, v2, v8
	v_add_co_ci_u32_e32 v12, vcc_lo, v3, v9, vcc_lo
	s_delay_alu instid0(VALU_DEP_2) | instskip(SKIP_1) | instid1(VALU_DEP_3)
	v_mul_hi_u32 v13, v6, v10
	v_mad_u64_u32 v[8:9], null, v7, v10, 0
	v_mad_u64_u32 v[2:3], null, v6, v12, 0
	;; [unrolled: 1-line block ×3, first 2 shown]
	s_delay_alu instid0(VALU_DEP_2) | instskip(NEXT) | instid1(VALU_DEP_3)
	v_add_co_u32 v2, vcc_lo, v13, v2
	v_add_co_ci_u32_e32 v3, vcc_lo, 0, v3, vcc_lo
	s_delay_alu instid0(VALU_DEP_2) | instskip(NEXT) | instid1(VALU_DEP_2)
	v_add_co_u32 v2, vcc_lo, v2, v8
	v_add_co_ci_u32_e32 v2, vcc_lo, v3, v9, vcc_lo
	v_add_co_ci_u32_e32 v3, vcc_lo, 0, v11, vcc_lo
	s_delay_alu instid0(VALU_DEP_2) | instskip(NEXT) | instid1(VALU_DEP_2)
	v_add_co_u32 v8, vcc_lo, v2, v10
	v_add_co_ci_u32_e32 v9, vcc_lo, 0, v3, vcc_lo
	s_delay_alu instid0(VALU_DEP_2) | instskip(SKIP_1) | instid1(VALU_DEP_3)
	v_mul_lo_u32 v10, s25, v8
	v_mad_u64_u32 v[2:3], null, s24, v8, 0
	v_mul_lo_u32 v11, s24, v9
	s_delay_alu instid0(VALU_DEP_2) | instskip(NEXT) | instid1(VALU_DEP_2)
	v_sub_co_u32 v2, vcc_lo, v6, v2
	v_add3_u32 v3, v3, v11, v10
	s_delay_alu instid0(VALU_DEP_1) | instskip(NEXT) | instid1(VALU_DEP_1)
	v_sub_nc_u32_e32 v10, v7, v3
	v_subrev_co_ci_u32_e64 v10, s2, s25, v10, vcc_lo
	v_add_co_u32 v11, s2, v8, 2
	s_delay_alu instid0(VALU_DEP_1) | instskip(SKIP_3) | instid1(VALU_DEP_3)
	v_add_co_ci_u32_e64 v12, s2, 0, v9, s2
	v_sub_co_u32 v13, s2, v2, s24
	v_sub_co_ci_u32_e32 v3, vcc_lo, v7, v3, vcc_lo
	v_subrev_co_ci_u32_e64 v10, s2, 0, v10, s2
	v_cmp_le_u32_e32 vcc_lo, s24, v13
	s_delay_alu instid0(VALU_DEP_3) | instskip(SKIP_1) | instid1(VALU_DEP_4)
	v_cmp_eq_u32_e64 s2, s25, v3
	v_cndmask_b32_e64 v13, 0, -1, vcc_lo
	v_cmp_le_u32_e32 vcc_lo, s25, v10
	v_cndmask_b32_e64 v14, 0, -1, vcc_lo
	v_cmp_le_u32_e32 vcc_lo, s24, v2
	;; [unrolled: 2-line block ×3, first 2 shown]
	v_cndmask_b32_e64 v15, 0, -1, vcc_lo
	v_cmp_eq_u32_e32 vcc_lo, s25, v10
	s_delay_alu instid0(VALU_DEP_2) | instskip(SKIP_3) | instid1(VALU_DEP_3)
	v_cndmask_b32_e64 v2, v15, v2, s2
	v_cndmask_b32_e32 v10, v14, v13, vcc_lo
	v_add_co_u32 v13, vcc_lo, v8, 1
	v_add_co_ci_u32_e32 v14, vcc_lo, 0, v9, vcc_lo
	v_cmp_ne_u32_e32 vcc_lo, 0, v10
	s_delay_alu instid0(VALU_DEP_2) | instskip(SKIP_1) | instid1(VALU_DEP_2)
	v_dual_cndmask_b32 v3, v14, v12 :: v_dual_cndmask_b32 v10, v13, v11
	v_cmp_ne_u32_e32 vcc_lo, 0, v2
	v_dual_cndmask_b32 v79, v9, v3 :: v_dual_cndmask_b32 v78, v8, v10
.LBB0_4:                                ;   in Loop: Header=BB0_2 Depth=1
	s_and_not1_saveexec_b32 s2, s3
	s_cbranch_execz .LBB0_6
; %bb.5:                                ;   in Loop: Header=BB0_2 Depth=1
	v_cvt_f32_u32_e32 v2, s24
	s_sub_i32 s3, 0, s24
	v_mov_b32_e32 v79, v1
	s_delay_alu instid0(VALU_DEP_2) | instskip(SKIP_2) | instid1(VALU_DEP_1)
	v_rcp_iflag_f32_e32 v2, v2
	s_waitcnt_depctr 0xfff
	v_mul_f32_e32 v2, 0x4f7ffffe, v2
	v_cvt_u32_f32_e32 v2, v2
	s_delay_alu instid0(VALU_DEP_1) | instskip(NEXT) | instid1(VALU_DEP_1)
	v_mul_lo_u32 v3, s3, v2
	v_mul_hi_u32 v3, v2, v3
	s_delay_alu instid0(VALU_DEP_1) | instskip(NEXT) | instid1(VALU_DEP_1)
	v_add_nc_u32_e32 v2, v2, v3
	v_mul_hi_u32 v2, v6, v2
	s_delay_alu instid0(VALU_DEP_1) | instskip(SKIP_1) | instid1(VALU_DEP_2)
	v_mul_lo_u32 v3, v2, s24
	v_add_nc_u32_e32 v8, 1, v2
	v_sub_nc_u32_e32 v3, v6, v3
	s_delay_alu instid0(VALU_DEP_1) | instskip(SKIP_1) | instid1(VALU_DEP_2)
	v_subrev_nc_u32_e32 v9, s24, v3
	v_cmp_le_u32_e32 vcc_lo, s24, v3
	v_dual_cndmask_b32 v3, v3, v9 :: v_dual_cndmask_b32 v2, v2, v8
	s_delay_alu instid0(VALU_DEP_1) | instskip(NEXT) | instid1(VALU_DEP_2)
	v_cmp_le_u32_e32 vcc_lo, s24, v3
	v_add_nc_u32_e32 v8, 1, v2
	s_delay_alu instid0(VALU_DEP_1)
	v_cndmask_b32_e32 v78, v2, v8, vcc_lo
.LBB0_6:                                ;   in Loop: Header=BB0_2 Depth=1
	s_or_b32 exec_lo, exec_lo, s2
	s_delay_alu instid0(VALU_DEP_1) | instskip(NEXT) | instid1(VALU_DEP_2)
	v_mul_lo_u32 v8, v79, s24
	v_mul_lo_u32 v9, v78, s25
	s_load_b64 s[2:3], s[14:15], 0x0
	v_mad_u64_u32 v[2:3], null, v78, s24, 0
	s_load_b64 s[24:25], s[12:13], 0x0
	s_add_u32 s22, s22, 1
	s_addc_u32 s23, s23, 0
	s_add_u32 s12, s12, 8
	s_addc_u32 s13, s13, 0
	s_add_u32 s14, s14, 8
	s_delay_alu instid0(VALU_DEP_1) | instskip(SKIP_3) | instid1(VALU_DEP_2)
	v_add3_u32 v3, v3, v9, v8
	v_sub_co_u32 v8, vcc_lo, v6, v2
	s_addc_u32 s15, s15, 0
	s_add_u32 s20, s20, 8
	v_sub_co_ci_u32_e32 v6, vcc_lo, v7, v3, vcc_lo
	s_addc_u32 s21, s21, 0
	s_waitcnt lgkmcnt(0)
	s_delay_alu instid0(VALU_DEP_1)
	v_mul_lo_u32 v9, s2, v6
	v_mul_lo_u32 v10, s3, v8
	v_mad_u64_u32 v[2:3], null, s2, v8, v[4:5]
	v_mul_lo_u32 v11, s24, v6
	v_mul_lo_u32 v12, s25, v8
	v_mad_u64_u32 v[6:7], null, s24, v8, v[76:77]
	v_cmp_ge_u64_e64 s2, s[22:23], s[10:11]
	v_add3_u32 v5, v10, v3, v9
	v_mov_b32_e32 v4, v2
	s_delay_alu instid0(VALU_DEP_4)
	v_add3_u32 v77, v12, v7, v11
	v_mov_b32_e32 v76, v6
	s_and_b32 vcc_lo, exec_lo, s2
	s_cbranch_vccnz .LBB0_9
; %bb.7:                                ;   in Loop: Header=BB0_2 Depth=1
	v_dual_mov_b32 v6, v78 :: v_dual_mov_b32 v7, v79
	s_branch .LBB0_2
.LBB0_8:
	v_dual_mov_b32 v77, v5 :: v_dual_mov_b32 v76, v4
	v_dual_mov_b32 v79, v7 :: v_dual_mov_b32 v78, v6
.LBB0_9:
	s_load_b64 s[0:1], s[0:1], 0x28
	v_mul_hi_u32 v1, 0x1a41a42, v0
	s_lshl_b64 s[10:11], s[10:11], 3
                                        ; implicit-def: $vgpr42_vgpr43
                                        ; implicit-def: $vgpr50_vgpr51
                                        ; implicit-def: $vgpr30_vgpr31
                                        ; implicit-def: $vgpr14_vgpr15
                                        ; implicit-def: $vgpr18_vgpr19
                                        ; implicit-def: $vgpr10_vgpr11
                                        ; implicit-def: $vgpr2_vgpr3
                                        ; implicit-def: $vgpr6_vgpr7
                                        ; implicit-def: $vgpr34_vgpr35
                                        ; implicit-def: $vgpr26_vgpr27
                                        ; implicit-def: $vgpr38_vgpr39
                                        ; implicit-def: $vgpr46_vgpr47
                                        ; implicit-def: $vgpr22_vgpr23
	s_delay_alu instid0(SALU_CYCLE_1) | instskip(SKIP_1) | instid1(VALU_DEP_1)
	s_add_u32 s2, s18, s10
	s_addc_u32 s3, s19, s11
	v_mul_u32_u24_e32 v1, 0x9c, v1
	s_delay_alu instid0(VALU_DEP_1) | instskip(SKIP_2) | instid1(VALU_DEP_2)
	v_sub_nc_u32_e32 v80, v0, v1
	s_waitcnt lgkmcnt(0)
	v_cmp_gt_u64_e32 vcc_lo, s[0:1], v[78:79]
	v_cmp_gt_u32_e64 s0, 0x90, v80
	s_delay_alu instid0(VALU_DEP_1) | instskip(NEXT) | instid1(SALU_CYCLE_1)
	s_and_b32 s1, vcc_lo, s0
	s_and_saveexec_b32 s12, s1
	s_cbranch_execz .LBB0_11
; %bb.10:
	s_add_u32 s10, s16, s10
	s_addc_u32 s11, s17, s11
	v_mov_b32_e32 v81, 0
	s_load_b64 s[10:11], s[10:11], 0x0
	s_waitcnt lgkmcnt(0)
	v_mul_lo_u32 v2, s11, v78
	v_mul_lo_u32 v3, s10, v79
	v_mad_u64_u32 v[0:1], null, s10, v78, 0
	s_delay_alu instid0(VALU_DEP_1) | instskip(SKIP_1) | instid1(VALU_DEP_2)
	v_add3_u32 v1, v1, v3, v2
	v_lshlrev_b64 v[2:3], 4, v[4:5]
	v_lshlrev_b64 v[0:1], 4, v[0:1]
	s_delay_alu instid0(VALU_DEP_1) | instskip(NEXT) | instid1(VALU_DEP_1)
	v_add_co_u32 v4, s1, s4, v0
	v_add_co_ci_u32_e64 v5, s1, s5, v1, s1
	v_lshlrev_b64 v[0:1], 4, v[80:81]
	s_delay_alu instid0(VALU_DEP_3) | instskip(NEXT) | instid1(VALU_DEP_1)
	v_add_co_u32 v2, s1, v4, v2
	v_add_co_ci_u32_e64 v3, s1, v5, v3, s1
	s_delay_alu instid0(VALU_DEP_2) | instskip(NEXT) | instid1(VALU_DEP_1)
	v_add_co_u32 v0, s1, v2, v0
	v_add_co_ci_u32_e64 v1, s1, v3, v1, s1
	s_clause 0x1
	global_load_b128 v[20:23], v[0:1], off
	global_load_b128 v[40:43], v[0:1], off offset:2304
	v_add_co_u32 v2, s1, 0x1000, v0
	s_delay_alu instid0(VALU_DEP_1) | instskip(SKIP_1) | instid1(VALU_DEP_1)
	v_add_co_ci_u32_e64 v3, s1, 0, v1, s1
	v_add_co_u32 v4, s1, 0x2000, v0
	v_add_co_ci_u32_e64 v5, s1, 0, v1, s1
	v_add_co_u32 v6, s1, 0x3000, v0
	s_delay_alu instid0(VALU_DEP_1) | instskip(SKIP_1) | instid1(VALU_DEP_1)
	v_add_co_ci_u32_e64 v7, s1, 0, v1, s1
	v_add_co_u32 v8, s1, 0x4000, v0
	v_add_co_ci_u32_e64 v9, s1, 0, v1, s1
	;; [unrolled: 5-line block ×3, first 2 shown]
	s_clause 0xa
	global_load_b128 v[48:51], v[2:3], off offset:512
	global_load_b128 v[44:47], v[2:3], off offset:2816
	global_load_b128 v[36:39], v[4:5], off offset:1024
	global_load_b128 v[28:31], v[4:5], off offset:3328
	global_load_b128 v[12:15], v[6:7], off offset:1536
	global_load_b128 v[24:27], v[6:7], off offset:3840
	global_load_b128 v[32:35], v[8:9], off offset:2048
	global_load_b128 v[16:19], v[10:11], off offset:256
	global_load_b128 v[8:11], v[10:11], off offset:2560
	global_load_b128 v[4:7], v[0:1], off offset:768
	global_load_b128 v[0:3], v[0:1], off offset:3072
.LBB0_11:
	s_or_b32 exec_lo, exec_lo, s12
	s_and_saveexec_b32 s1, s0
	s_cbranch_execz .LBB0_13
; %bb.12:
	s_waitcnt vmcnt(11)
	v_add_f64 v[52:53], v[40:41], v[20:21]
	s_waitcnt vmcnt(0)
	v_add_f64 v[54:55], v[40:41], v[0:1]
	s_mov_b32 s36, 0xb2365da1
	s_mov_b32 s40, 0xd0032e0c
	;; [unrolled: 1-line block ×7, first 2 shown]
	v_add_f64 v[58:59], v[48:49], v[4:5]
	s_mov_b32 s38, 0x1ea71119
	v_add_f64 v[60:61], v[42:43], -v[2:3]
	s_mov_b32 s35, 0x3fbedb7d
	s_mov_b32 s39, 0x3fe22d96
	;; [unrolled: 1-line block ×16, first 2 shown]
	v_add_f64 v[56:57], v[8:9], v[44:45]
	s_mov_b32 s4, 0x66966769
	s_mov_b32 s18, 0x42a4c3d2
	v_add_f64 v[72:73], v[50:51], -v[6:7]
	s_mov_b32 s5, 0xbfefc445
	s_mov_b32 s19, 0xbfea55e2
	;; [unrolled: 1-line block ×6, first 2 shown]
	v_add_f64 v[52:53], v[48:49], v[52:53]
	v_mul_f64 v[64:65], v[54:55], s[40:41]
	v_mul_f64 v[66:67], v[54:55], s[36:37]
	v_mul_f64 v[62:63], v[54:55], s[44:45]
	v_mul_f64 v[68:69], v[54:55], s[34:35]
	v_mul_f64 v[70:71], v[54:55], s[38:39]
	v_mul_f64 v[54:55], v[54:55], s[42:43]
	s_mov_b32 s26, s18
	s_mov_b32 s17, 0xbfddbe06
	v_mul_f64 v[81:82], v[58:59], s[34:35]
	v_mul_f64 v[83:84], v[58:59], s[40:41]
	v_mul_f64 v[74:75], v[58:59], s[42:43]
	v_mul_f64 v[85:86], v[58:59], s[44:45]
	v_mul_f64 v[87:88], v[58:59], s[36:37]
	v_mul_f64 v[58:59], v[58:59], s[38:39]
	s_mov_b32 s23, 0x3fddbe06
	s_mov_b32 s22, s16
	v_add_f64 v[101:102], v[16:17], v[36:37]
	v_mul_f64 v[105:106], v[56:57], s[38:39]
	v_mul_f64 v[107:108], v[56:57], s[42:43]
	;; [unrolled: 1-line block ×6, first 2 shown]
	v_add_f64 v[52:53], v[44:45], v[52:53]
	v_fma_f64 v[91:92], v[60:61], s[14:15], v[64:65]
	v_fma_f64 v[64:65], v[60:61], s[24:25], v[64:65]
	;; [unrolled: 1-line block ×12, first 2 shown]
	v_add_f64 v[60:61], v[46:47], -v[10:11]
	v_fma_f64 v[115:116], v[72:73], s[4:5], v[81:82]
	v_fma_f64 v[81:82], v[72:73], s[30:31], v[81:82]
	;; [unrolled: 1-line block ×12, first 2 shown]
	v_mul_f64 v[127:128], v[101:102], s[44:45]
	v_mul_f64 v[129:130], v[101:102], s[34:35]
	;; [unrolled: 1-line block ×6, first 2 shown]
	v_add_f64 v[52:53], v[36:37], v[52:53]
	v_add_f64 v[64:65], v[64:65], v[20:21]
	;; [unrolled: 1-line block ×13, first 2 shown]
	v_add_f64 v[54:55], v[38:39], -v[18:19]
	v_add_f64 v[99:100], v[28:29], v[32:33]
	v_fma_f64 v[137:138], v[60:61], s[26:27], v[105:106]
	v_fma_f64 v[105:106], v[60:61], s[18:19], v[105:106]
	;; [unrolled: 1-line block ×12, first 2 shown]
	v_add_f64 v[52:53], v[28:29], v[52:53]
	v_add_f64 v[64:65], v[81:82], v[64:65]
	;; [unrolled: 1-line block ×13, first 2 shown]
	v_add_f64 v[85:86], v[30:31], -v[34:35]
	v_add_f64 v[87:88], v[12:13], v[24:25]
	v_mul_f64 v[91:92], v[99:100], s[42:43]
	v_mul_f64 v[93:94], v[99:100], s[44:45]
	v_fma_f64 v[119:120], v[54:55], s[12:13], v[127:128]
	v_fma_f64 v[123:124], v[54:55], s[4:5], v[129:130]
	v_mul_f64 v[89:90], v[99:100], s[36:37]
	v_fma_f64 v[113:114], v[54:55], s[18:19], v[125:126]
	v_fma_f64 v[115:116], v[54:55], s[26:27], v[125:126]
	;; [unrolled: 1-line block ×4, first 2 shown]
	v_mul_f64 v[95:96], v[99:100], s[38:39]
	v_mul_f64 v[97:98], v[99:100], s[34:35]
	v_fma_f64 v[125:126], v[54:55], s[16:17], v[131:132]
	v_fma_f64 v[129:130], v[54:55], s[24:25], v[133:134]
	v_mul_f64 v[99:100], v[99:100], s[40:41]
	v_fma_f64 v[127:128], v[54:55], s[22:23], v[131:132]
	v_fma_f64 v[131:132], v[54:55], s[14:15], v[133:134]
	;; [unrolled: 1-line block ×4, first 2 shown]
	v_add_f64 v[52:53], v[12:13], v[52:53]
	v_add_f64 v[64:65], v[105:106], v[64:65]
	v_add_f64 v[66:67], v[107:108], v[66:67]
	v_add_f64 v[60:61], v[135:136], v[60:61]
	v_add_f64 v[62:63], v[103:104], v[62:63]
	v_add_f64 v[72:73], v[137:138], v[72:73]
	v_add_f64 v[74:75], v[139:140], v[74:75]
	v_add_f64 v[81:82], v[141:142], v[81:82]
	v_add_f64 v[83:84], v[143:144], v[83:84]
	v_add_f64 v[56:57], v[56:57], v[58:59]
	v_add_f64 v[68:69], v[109:110], v[68:69]
	v_add_f64 v[58:59], v[111:112], v[70:71]
	v_add_f64 v[20:21], v[145:146], v[20:21]
	v_add_f64 v[70:71], v[14:15], -v[26:27]
	v_mul_f64 v[101:102], v[87:88], s[34:35]
	v_mul_f64 v[103:104], v[87:88], s[36:37]
	;; [unrolled: 1-line block ×3, first 2 shown]
	v_fma_f64 v[135:136], v[85:86], s[16:17], v[91:92]
	v_fma_f64 v[91:92], v[85:86], s[22:23], v[91:92]
	;; [unrolled: 1-line block ×6, first 2 shown]
	v_mul_f64 v[107:108], v[87:88], s[40:41]
	v_mul_f64 v[109:110], v[87:88], s[42:43]
	v_fma_f64 v[139:140], v[85:86], s[26:27], v[95:96]
	v_fma_f64 v[141:142], v[85:86], s[4:5], v[97:98]
	v_mul_f64 v[87:88], v[87:88], s[44:45]
	v_fma_f64 v[95:96], v[85:86], s[18:19], v[95:96]
	v_fma_f64 v[97:98], v[85:86], s[30:31], v[97:98]
	;; [unrolled: 1-line block ×4, first 2 shown]
	v_add_f64 v[52:53], v[24:25], v[52:53]
	v_add_f64 v[64:65], v[119:120], v[64:65]
	;; [unrolled: 1-line block ×13, first 2 shown]
	v_fma_f64 v[58:59], v[70:71], s[4:5], v[101:102]
	v_fma_f64 v[99:100], v[70:71], s[30:31], v[101:102]
	;; [unrolled: 1-line block ×12, first 2 shown]
	v_add_f64 v[52:53], v[32:33], v[52:53]
	v_add_f64 v[64:65], v[91:92], v[64:65]
	;; [unrolled: 1-line block ×26, first 2 shown]
	v_mad_u32_u24 v70, 0x68, v80, 0
	v_add_f64 v[52:53], v[8:9], v[52:53]
	s_delay_alu instid0(VALU_DEP_1) | instskip(NEXT) | instid1(VALU_DEP_1)
	v_add_f64 v[52:53], v[4:5], v[52:53]
	v_add_f64 v[52:53], v[0:1], v[52:53]
	ds_store_2addr_b64 v70, v[66:67], v[64:65] offset0:4 offset1:5
	ds_store_2addr_b64 v70, v[60:61], v[58:59] offset0:6 offset1:7
	;; [unrolled: 1-line block ×4, first 2 shown]
	ds_store_2addr_b64 v70, v[52:53], v[54:55] offset1:1
	ds_store_2addr_b64 v70, v[56:57], v[68:69] offset0:2 offset1:3
	ds_store_b64 v70, v[20:21] offset:96
.LBB0_13:
	s_or_b32 exec_lo, exec_lo, s1
	v_lshl_add_u32 v82, v80, 3, 0
	s_waitcnt vmcnt(0) lgkmcnt(0)
	s_barrier
	buffer_gl0_inv
	v_add_nc_u32_e32 v81, 0x1200, v82
	v_add_nc_u32_e32 v83, 0x2400, v82
	;; [unrolled: 1-line block ×5, first 2 shown]
	ds_load_2addr_b64 v[52:55], v82 offset1:156
	ds_load_2addr_b64 v[68:71], v81 offset0:48 offset1:204
	ds_load_2addr_b64 v[72:75], v83 offset0:96 offset1:252
	;; [unrolled: 1-line block ×5, first 2 shown]
	s_waitcnt lgkmcnt(0)
	s_barrier
	buffer_gl0_inv
	s_and_saveexec_b32 s33, s0
	s_cbranch_execz .LBB0_15
; %bb.14:
	v_add_f64 v[20:21], v[42:43], v[22:23]
	v_add_f64 v[0:1], v[40:41], -v[0:1]
	s_mov_b32 s28, 0x42a4c3d2
	s_mov_b32 s14, 0x2ef20147
	;; [unrolled: 1-line block ×10, first 2 shown]
	v_add_f64 v[4:5], v[48:49], -v[4:5]
	v_add_f64 v[40:41], v[42:43], v[2:3]
	s_mov_b32 s30, 0x66966769
	s_mov_b32 s31, 0xbfefc445
	;; [unrolled: 1-line block ×17, first 2 shown]
	v_add_f64 v[8:9], v[44:45], -v[8:9]
	v_add_f64 v[44:45], v[50:51], v[6:7]
	s_mov_b32 s5, 0x3fbedb7d
	s_mov_b32 s37, 0x3fedeba7
	;; [unrolled: 1-line block ×3, first 2 shown]
	v_add_f64 v[16:17], v[36:37], -v[16:17]
	s_mov_b32 s39, 0x3fcea1e5
	v_add_f64 v[20:21], v[50:51], v[20:21]
	v_mul_f64 v[42:43], v[0:1], s[12:13]
	v_mul_f64 v[48:49], v[0:1], s[28:29]
	;; [unrolled: 1-line block ×6, first 2 shown]
	s_mov_b32 s13, 0x3fddbe06
	s_mov_b32 s38, s24
	v_add_f64 v[28:29], v[28:29], -v[32:33]
	v_add_f64 v[12:13], v[12:13], -v[24:25]
	v_mul_f64 v[50:51], v[4:5], s[28:29]
	v_mul_f64 v[93:94], v[4:5], s[14:15]
	;; [unrolled: 1-line block ×10, first 2 shown]
	s_mov_b32 s37, 0x3fea55e2
	s_mov_b32 s36, s28
	v_mul_f64 v[32:33], v[16:17], s[14:15]
	v_add_f64 v[20:21], v[46:47], v[20:21]
	v_fma_f64 v[101:102], v[40:41], s[0:1], -v[42:43]
	v_fma_f64 v[103:104], v[40:41], s[10:11], -v[48:49]
	v_fma_f64 v[48:49], v[40:41], s[10:11], v[48:49]
	v_fma_f64 v[105:106], v[40:41], s[16:17], -v[87:88]
	v_fma_f64 v[87:88], v[40:41], s[16:17], v[87:88]
	v_fma_f64 v[107:108], v[40:41], s[18:19], -v[89:90]
	v_fma_f64 v[109:110], v[40:41], s[22:23], -v[91:92]
	v_fma_f64 v[91:92], v[40:41], s[22:23], v[91:92]
	v_fma_f64 v[89:90], v[40:41], s[18:19], v[89:90]
	;; [unrolled: 1-line block ×3, first 2 shown]
	v_fma_f64 v[0:1], v[40:41], s[4:5], -v[0:1]
	v_fma_f64 v[40:41], v[40:41], s[0:1], v[42:43]
	v_add_f64 v[42:43], v[10:11], v[46:47]
	v_mul_f64 v[46:47], v[8:9], s[24:25]
	v_mul_f64 v[8:9], v[8:9], s[12:13]
	v_fma_f64 v[119:120], v[44:45], s[10:11], -v[50:51]
	v_fma_f64 v[50:51], v[44:45], s[10:11], v[50:51]
	v_fma_f64 v[121:122], v[44:45], s[16:17], -v[93:94]
	v_fma_f64 v[93:94], v[44:45], s[16:17], v[93:94]
	v_fma_f64 v[123:124], v[44:45], s[22:23], -v[95:96]
	v_fma_f64 v[95:96], v[44:45], s[22:23], v[95:96]
	v_fma_f64 v[125:126], v[44:45], s[18:19], -v[97:98]
	v_fma_f64 v[97:98], v[44:45], s[18:19], v[97:98]
	v_fma_f64 v[127:128], v[44:45], s[4:5], -v[99:100]
	v_fma_f64 v[99:100], v[44:45], s[4:5], v[99:100]
	v_fma_f64 v[129:130], v[44:45], s[0:1], -v[4:5]
	v_fma_f64 v[4:5], v[44:45], s[0:1], v[4:5]
	v_mul_f64 v[131:132], v[16:17], s[38:39]
	v_mul_f64 v[133:134], v[16:17], s[36:37]
	;; [unrolled: 1-line block ×3, first 2 shown]
	v_add_f64 v[20:21], v[38:39], v[20:21]
	v_add_f64 v[44:45], v[101:102], v[22:23]
	;; [unrolled: 1-line block ×14, first 2 shown]
	v_mul_f64 v[40:41], v[16:17], s[34:35]
	v_mul_f64 v[111:112], v[16:17], s[30:31]
	;; [unrolled: 1-line block ×3, first 2 shown]
	v_fma_f64 v[135:136], v[42:43], s[4:5], -v[36:37]
	v_fma_f64 v[36:37], v[42:43], s[4:5], v[36:37]
	v_fma_f64 v[137:138], v[42:43], s[22:23], -v[46:47]
	v_fma_f64 v[46:47], v[42:43], s[22:23], v[46:47]
	v_fma_f64 v[139:140], v[42:43], s[16:17], -v[113:114]
	v_fma_f64 v[113:114], v[42:43], s[16:17], v[113:114]
	v_fma_f64 v[141:142], v[42:43], s[10:11], -v[115:116]
	v_fma_f64 v[115:116], v[42:43], s[10:11], v[115:116]
	v_fma_f64 v[143:144], v[42:43], s[18:19], -v[117:118]
	v_fma_f64 v[117:118], v[42:43], s[18:19], v[117:118]
	v_fma_f64 v[145:146], v[42:43], s[0:1], -v[8:9]
	v_fma_f64 v[8:9], v[42:43], s[0:1], v[8:9]
	v_add_f64 v[20:21], v[30:31], v[20:21]
	v_add_f64 v[42:43], v[119:120], v[44:45]
	;; [unrolled: 1-line block ×14, first 2 shown]
	v_mul_f64 v[50:51], v[28:29], s[28:29]
	v_mul_f64 v[95:96], v[28:29], s[38:39]
	;; [unrolled: 1-line block ×3, first 2 shown]
	v_fma_f64 v[103:104], v[38:39], s[16:17], -v[32:33]
	v_fma_f64 v[32:33], v[38:39], s[16:17], v[32:33]
	v_fma_f64 v[105:106], v[38:39], s[18:19], -v[40:41]
	v_fma_f64 v[40:41], v[38:39], s[18:19], v[40:41]
	v_fma_f64 v[107:108], v[38:39], s[4:5], -v[111:112]
	v_fma_f64 v[109:110], v[38:39], s[4:5], v[111:112]
	v_fma_f64 v[111:112], v[38:39], s[22:23], -v[131:132]
	v_fma_f64 v[119:120], v[38:39], s[22:23], v[131:132]
	v_fma_f64 v[121:122], v[38:39], s[10:11], -v[133:134]
	v_fma_f64 v[123:124], v[38:39], s[10:11], v[133:134]
	v_fma_f64 v[125:126], v[38:39], s[0:1], -v[16:17]
	v_fma_f64 v[16:17], v[38:39], s[0:1], v[16:17]
	v_add_f64 v[20:21], v[14:15], v[20:21]
	v_add_f64 v[38:39], v[135:136], v[42:43]
	v_add_f64 v[42:43], v[137:138], v[44:45]
	v_add_f64 v[44:45], v[46:47], v[48:49]
	v_add_f64 v[46:47], v[145:146], v[93:94]
	v_add_f64 v[8:9], v[8:9], v[87:88]
	v_add_f64 v[48:49], v[141:142], v[97:98]
	v_add_f64 v[87:88], v[143:144], v[101:102]
	v_add_f64 v[4:5], v[117:118], v[4:5]
	v_add_f64 v[89:90], v[115:116], v[89:90]
	v_add_f64 v[91:92], v[113:114], v[91:92]
	v_add_f64 v[0:1], v[139:140], v[0:1]
	v_add_f64 v[14:15], v[14:15], v[26:27]
	v_mul_f64 v[93:94], v[12:13], s[14:15]
	v_mul_f64 v[97:98], v[12:13], s[26:27]
	v_fma_f64 v[101:102], v[30:31], s[18:19], -v[24:25]
	v_fma_f64 v[24:25], v[30:31], s[18:19], v[24:25]
	v_fma_f64 v[115:116], v[30:31], s[10:11], -v[50:51]
	v_fma_f64 v[50:51], v[30:31], s[10:11], v[50:51]
	v_fma_f64 v[117:118], v[30:31], s[22:23], -v[95:96]
	v_fma_f64 v[95:96], v[30:31], s[22:23], v[95:96]
	v_fma_f64 v[127:128], v[30:31], s[16:17], -v[99:100]
	v_fma_f64 v[99:100], v[30:31], s[16:17], v[99:100]
	v_add_f64 v[20:21], v[26:27], v[20:21]
	v_mul_f64 v[26:27], v[12:13], s[20:21]
	v_add_f64 v[40:41], v[40:41], v[44:45]
	v_add_f64 v[8:9], v[109:110], v[8:9]
	;; [unrolled: 1-line block ×7, first 2 shown]
	v_fma_f64 v[89:90], v[14:15], s[16:17], -v[93:94]
	v_fma_f64 v[91:92], v[14:15], s[16:17], v[93:94]
	v_fma_f64 v[93:94], v[14:15], s[4:5], -v[97:98]
	v_fma_f64 v[97:98], v[14:15], s[4:5], v[97:98]
	v_add_f64 v[20:21], v[34:35], v[20:21]
	v_mul_f64 v[34:35], v[28:29], s[26:27]
	v_mul_f64 v[28:29], v[28:29], s[12:13]
	v_add_f64 v[8:9], v[95:96], v[8:9]
	v_add_f64 v[4:5], v[99:100], v[4:5]
	;; [unrolled: 1-line block ×6, first 2 shown]
	v_mul_f64 v[22:23], v[12:13], s[24:25]
	v_mul_f64 v[36:37], v[12:13], s[36:37]
	;; [unrolled: 1-line block ×3, first 2 shown]
	v_fma_f64 v[113:114], v[30:31], s[4:5], -v[34:35]
	v_fma_f64 v[34:35], v[30:31], s[4:5], v[34:35]
	v_fma_f64 v[129:130], v[30:31], s[0:1], -v[28:29]
	v_fma_f64 v[28:29], v[30:31], s[0:1], v[28:29]
	v_add_f64 v[30:31], v[103:104], v[38:39]
	v_add_f64 v[38:39], v[105:106], v[42:43]
	;; [unrolled: 1-line block ×7, first 2 shown]
	v_fma_f64 v[20:21], v[14:15], s[22:23], -v[22:23]
	v_fma_f64 v[22:23], v[14:15], s[22:23], v[22:23]
	v_fma_f64 v[32:33], v[14:15], s[18:19], -v[26:27]
	v_fma_f64 v[26:27], v[14:15], s[18:19], v[26:27]
	v_fma_f64 v[87:88], v[14:15], s[10:11], -v[36:37]
	v_fma_f64 v[36:37], v[14:15], s[10:11], v[36:37]
	v_fma_f64 v[103:104], v[14:15], s[0:1], -v[12:13]
	v_fma_f64 v[12:13], v[14:15], s[0:1], v[12:13]
	v_add_f64 v[14:15], v[101:102], v[30:31]
	v_add_f64 v[30:31], v[113:114], v[38:39]
	;; [unrolled: 1-line block ×21, first 2 shown]
	v_mad_u32_u24 v10, 0x60, v80, v82
	ds_store_2addr_b64 v10, v[20:21], v[24:25] offset0:4 offset1:5
	ds_store_2addr_b64 v10, v[30:31], v[4:5] offset0:6 offset1:7
	;; [unrolled: 1-line block ×5, first 2 shown]
	ds_store_2addr_b64 v10, v[2:3], v[14:15] offset1:1
	ds_store_b64 v10, v[6:7] offset:96
.LBB0_15:
	s_or_b32 exec_lo, exec_lo, s33
	v_add_nc_u32_e32 v25, 0x9c, v80
	v_add_nc_u32_e32 v24, 0x138, v80
	v_and_b32_e32 v51, 0xff, v80
	v_add_nc_u32_e32 v26, 0x1d4, v80
	s_load_b64 s[0:1], s[2:3], 0x0
	v_and_b32_e32 v103, 0xffff, v25
	v_and_b32_e32 v104, 0xffff, v24
	v_mul_lo_u16 v0, 0x4f, v51
	v_and_b32_e32 v1, 0xffff, v26
	s_waitcnt lgkmcnt(0)
	v_mul_u32_u24_e32 v2, 0x4ec5, v103
	v_mul_u32_u24_e32 v3, 0x4ec5, v104
	v_lshrrev_b16 v105, 10, v0
	v_mul_u32_u24_e32 v0, 0x4ec5, v1
	s_barrier
	v_lshrrev_b32_e32 v106, 18, v2
	v_lshrrev_b32_e32 v107, 18, v3
	v_mul_lo_u16 v1, v105, 13
	v_lshrrev_b32_e32 v108, 18, v0
	buffer_gl0_inv
	v_mul_lo_u16 v0, v106, 13
	v_mul_lo_u16 v2, v107, 13
	v_sub_nc_u16 v1, v80, v1
	v_mul_lo_u16 v3, v108, 13
	s_mov_b32 s4, 0xe8584caa
	v_sub_nc_u16 v0, v25, v0
	v_sub_nc_u16 v2, v24, v2
	v_and_b32_e32 v109, 0xff, v1
	v_sub_nc_u16 v1, v26, v3
	s_mov_b32 s5, 0xbfebb67a
	v_and_b32_e32 v110, 0xffff, v0
	v_and_b32_e32 v111, 0xffff, v2
	v_lshlrev_b32_e32 v4, 5, v109
	v_and_b32_e32 v112, 0xffff, v1
	s_mov_b32 s3, 0x3febb67a
	v_lshlrev_b32_e32 v12, 5, v110
	v_lshlrev_b32_e32 v20, 5, v111
	s_clause 0x1
	global_load_b128 v[0:3], v4, s[8:9] offset:16
	global_load_b128 v[4:7], v4, s[8:9]
	v_lshlrev_b32_e32 v31, 5, v112
	s_mov_b32 s2, s4
	s_clause 0x5
	global_load_b128 v[8:11], v12, s[8:9]
	global_load_b128 v[12:15], v12, s[8:9] offset:16
	global_load_b128 v[16:19], v20, s[8:9]
	global_load_b128 v[20:23], v20, s[8:9] offset:16
	;; [unrolled: 2-line block ×3, first 2 shown]
	ds_load_2addr_b64 v[35:38], v81 offset0:48 offset1:204
	ds_load_2addr_b64 v[39:42], v83 offset0:96 offset1:252
	;; [unrolled: 1-line block ×4, first 2 shown]
	s_waitcnt vmcnt(5) lgkmcnt(3)
	v_mul_f64 v[91:92], v[37:38], v[10:11]
	s_waitcnt lgkmcnt(2)
	v_mul_f64 v[89:90], v[39:40], v[2:3]
	s_waitcnt vmcnt(3) lgkmcnt(1)
	v_mul_f64 v[95:96], v[43:44], v[18:19]
	s_waitcnt vmcnt(2) lgkmcnt(0)
	v_mul_f64 v[97:98], v[47:48], v[22:23]
	s_waitcnt vmcnt(1)
	v_mul_f64 v[99:100], v[45:46], v[29:30]
	s_waitcnt vmcnt(0)
	v_mul_f64 v[101:102], v[49:50], v[33:34]
	v_mul_f64 v[87:88], v[35:36], v[6:7]
	;; [unrolled: 1-line block ×11, first 2 shown]
	v_fma_f64 v[70:71], v[70:71], v[8:9], v[91:92]
	v_fma_f64 v[72:73], v[72:73], v[0:1], v[89:90]
	;; [unrolled: 1-line block ×8, first 2 shown]
	v_fma_f64 v[35:36], v[35:36], v[4:5], -v[6:7]
	v_fma_f64 v[39:40], v[39:40], v[0:1], -v[2:3]
	;; [unrolled: 1-line block ×8, first 2 shown]
	v_mul_lo_u16 v31, 0xa5, v51
	v_mul_u32_u24_e32 v32, 0xa41b, v104
	v_and_b32_e32 v33, 0xffff, v105
	ds_load_2addr_b64 v[0:3], v82 offset1:156
	ds_load_2addr_b64 v[4:7], v84 offset0:56 offset1:212
	v_lshrrev_b16 v89, 8, v31
	v_mul_u32_u24_e32 v31, 0xa41b, v103
	v_lshrrev_b32_e32 v91, 16, v32
	v_mul_u32_u24_e32 v92, 0x138, v33
	v_mul_u32_u24_e32 v93, 0x138, v106
	v_sub_nc_u16 v37, v80, v89
	v_lshrrev_b32_e32 v90, 16, v31
	v_sub_nc_u16 v45, v24, v91
	v_mul_u32_u24_e32 v94, 0x138, v107
	v_mul_u32_u24_e32 v98, 0x138, v108
	v_lshrrev_b16 v43, 1, v37
	v_sub_nc_u16 v44, v25, v90
	v_lshrrev_b16 v97, 1, v45
	s_waitcnt lgkmcnt(0)
	s_barrier
	v_and_b32_e32 v95, 0x7f, v43
	v_lshrrev_b16 v96, 1, v44
	v_add_f64 v[47:48], v[54:55], v[70:71]
	buffer_gl0_inv
	v_add_f64 v[49:50], v[56:57], v[60:61]
	v_add_f64 v[27:28], v[60:61], v[64:65]
	;; [unrolled: 1-line block ×8, first 2 shown]
	v_add_f64 v[45:46], v[35:36], -v[39:40]
	v_add_f64 v[33:34], v[8:9], v[10:11]
	v_add_f64 v[35:36], v[0:1], v[35:36]
	;; [unrolled: 1-line block ×4, first 2 shown]
	v_fma_f64 v[27:28], v[27:28], -0.5, v[56:57]
	v_lshlrev_b32_e32 v57, 3, v109
	v_fma_f64 v[29:30], v[29:30], -0.5, v[58:59]
	v_add_nc_u16 v58, v95, v89
	v_fma_f64 v[20:21], v[20:21], -0.5, v[52:53]
	v_add_f64 v[51:52], v[8:9], -v[10:11]
	v_fma_f64 v[22:23], v[22:23], -0.5, v[54:55]
	v_add_f64 v[53:54], v[12:13], -v[14:15]
	v_add_f64 v[55:56], v[16:17], -v[18:19]
	v_add_nc_u16 v59, v96, v90
	v_add3_u32 v90, 0, v92, v57
	v_lshrrev_b16 v92, 5, v58
	v_add_f64 v[57:58], v[68:69], -v[72:73]
	v_fma_f64 v[0:1], v[31:32], -0.5, v[0:1]
	v_add_f64 v[8:9], v[2:3], v[8:9]
	v_add_f64 v[31:32], v[70:71], -v[74:75]
	v_fma_f64 v[2:3], v[33:34], -0.5, v[2:3]
	v_add_f64 v[12:13], v[4:5], v[12:13]
	;; [unrolled: 3-line block ×3, first 2 shown]
	v_add_f64 v[37:38], v[62:63], -v[66:67]
	v_fma_f64 v[6:7], v[41:42], -0.5, v[6:7]
	v_add_nc_u16 v89, v97, v91
	v_and_b32_e32 v114, 7, v92
	v_lshrrev_b16 v113, 5, v59
	v_add_f64 v[41:42], v[43:44], v[72:73]
	v_add_f64 v[43:44], v[47:48], v[74:75]
	v_lshrrev_b16 v115, 5, v89
	v_mul_lo_u16 v62, v114, 39
	v_add_f64 v[47:48], v[49:50], v[64:65]
	v_add_f64 v[35:36], v[35:36], v[39:40]
	v_mul_lo_u16 v61, v113, 39
	v_add_f64 v[49:50], v[87:88], v[66:67]
	v_lshlrev_b32_e32 v91, 3, v110
	v_lshlrev_b32_e32 v71, 3, v111
	;; [unrolled: 1-line block ×3, first 2 shown]
	v_sub_nc_u16 v25, v25, v61
	s_delay_alu instid0(VALU_DEP_4) | instskip(NEXT) | instid1(VALU_DEP_4)
	v_add3_u32 v73, 0, v93, v91
	v_add3_u32 v71, 0, v94, v71
	v_fma_f64 v[59:60], v[45:46], s[4:5], v[20:21]
	v_fma_f64 v[20:21], v[45:46], s[2:3], v[20:21]
	;; [unrolled: 1-line block ×8, first 2 shown]
	v_mul_lo_u16 v55, v115, 39
	v_sub_nc_u16 v56, v80, v62
	v_fma_f64 v[63:64], v[57:58], s[2:3], v[0:1]
	v_fma_f64 v[57:58], v[57:58], s[4:5], v[0:1]
	v_add_f64 v[39:40], v[8:9], v[10:11]
	v_fma_f64 v[65:66], v[31:32], s[2:3], v[2:3]
	v_fma_f64 v[31:32], v[31:32], s[4:5], v[2:3]
	v_sub_nc_u16 v72, v24, v55
	v_and_b32_e32 v75, 0xff, v56
	v_add_f64 v[55:56], v[12:13], v[14:15]
	v_fma_f64 v[67:68], v[33:34], s[2:3], v[4:5]
	v_fma_f64 v[33:34], v[33:34], s[4:5], v[4:5]
	v_add_f64 v[61:62], v[16:17], v[18:19]
	v_fma_f64 v[69:70], v[37:38], s[2:3], v[6:7]
	v_fma_f64 v[37:38], v[37:38], s[4:5], v[6:7]
	v_and_b32_e32 v25, 0xffff, v25
	v_mul_u32_u24_e32 v1, 3, v75
	v_and_b32_e32 v116, 0xffff, v72
	v_add3_u32 v72, 0, v98, v92
	ds_store_2addr_b64 v90, v[41:42], v[59:60] offset1:13
	ds_store_b64 v90, v[20:21] offset:208
	ds_store_2addr_b64 v73, v[43:44], v[45:46] offset1:13
	ds_store_b64 v73, v[22:23] offset:208
	;; [unrolled: 2-line block ×4, first 2 shown]
	v_mul_u32_u24_e32 v0, 3, v25
	v_lshlrev_b32_e32 v88, 4, v1
	v_mul_u32_u24_e32 v74, 3, v116
	s_waitcnt lgkmcnt(0)
	s_barrier
	v_lshlrev_b32_e32 v87, 4, v0
	buffer_gl0_inv
	ds_load_2addr_b64 v[0:3], v82 offset1:156
	ds_load_2addr_b64 v[4:7], v84 offset0:56 offset1:212
	ds_load_2addr_b64 v[8:11], v85 offset0:40 offset1:196
	;; [unrolled: 1-line block ×5, first 2 shown]
	s_waitcnt lgkmcnt(0)
	s_barrier
	buffer_gl0_inv
	ds_store_2addr_b64 v90, v[35:36], v[63:64] offset1:13
	ds_store_b64 v90, v[57:58] offset:208
	ds_store_2addr_b64 v73, v[39:40], v[65:66] offset1:13
	ds_store_b64 v73, v[31:32] offset:208
	;; [unrolled: 2-line block ×4, first 2 shown]
	s_waitcnt lgkmcnt(0)
	s_barrier
	buffer_gl0_inv
	s_clause 0x1
	global_load_b128 v[27:30], v88, s[8:9] offset:432
	global_load_b128 v[31:34], v88, s[8:9] offset:416
	v_lshlrev_b32_e32 v59, 4, v74
	s_clause 0x6
	global_load_b128 v[35:38], v88, s[8:9] offset:448
	global_load_b128 v[39:42], v87, s[8:9] offset:416
	;; [unrolled: 1-line block ×7, first 2 shown]
	ds_load_2addr_b64 v[63:66], v84 offset0:56 offset1:212
	ds_load_2addr_b64 v[67:70], v85 offset0:40 offset1:196
	;; [unrolled: 1-line block ×5, first 2 shown]
	s_waitcnt vmcnt(6) lgkmcnt(2)
	v_mul_f64 v[99:100], v[73:74], v[37:38]
	v_mul_f64 v[37:38], v[14:15], v[37:38]
	s_waitcnt vmcnt(5) lgkmcnt(1)
	v_mul_f64 v[101:102], v[87:88], v[41:42]
	v_mul_f64 v[97:98], v[67:68], v[29:30]
	;; [unrolled: 1-line block ×5, first 2 shown]
	s_waitcnt vmcnt(4)
	v_mul_f64 v[103:104], v[69:70], v[45:46]
	s_waitcnt vmcnt(3) lgkmcnt(0)
	v_mul_f64 v[105:106], v[91:92], v[49:50]
	v_mul_f64 v[41:42], v[16:17], v[41:42]
	;; [unrolled: 1-line block ×4, first 2 shown]
	s_waitcnt vmcnt(2)
	v_mul_f64 v[107:108], v[89:90], v[53:54]
	s_waitcnt vmcnt(1)
	v_mul_f64 v[109:110], v[71:72], v[57:58]
	;; [unrolled: 2-line block ×3, first 2 shown]
	v_mul_f64 v[53:54], v[18:19], v[53:54]
	v_mul_f64 v[57:58], v[12:13], v[57:58]
	v_mul_f64 v[61:62], v[22:23], v[61:62]
	v_fma_f64 v[14:15], v[14:15], v[35:36], v[99:100]
	v_fma_f64 v[16:17], v[16:17], v[39:40], v[101:102]
	;; [unrolled: 1-line block ×4, first 2 shown]
	v_fma_f64 v[31:32], v[65:66], v[31:32], -v[33:34]
	v_fma_f64 v[27:28], v[67:68], v[27:28], -v[29:30]
	;; [unrolled: 1-line block ×3, first 2 shown]
	v_fma_f64 v[10:11], v[10:11], v[43:44], v[103:104]
	v_fma_f64 v[20:21], v[20:21], v[47:48], v[105:106]
	v_fma_f64 v[33:34], v[87:88], v[39:40], -v[41:42]
	v_fma_f64 v[35:36], v[69:70], v[43:44], -v[45:46]
	;; [unrolled: 1-line block ×3, first 2 shown]
	v_fma_f64 v[18:19], v[18:19], v[51:52], v[107:108]
	v_fma_f64 v[12:13], v[12:13], v[55:56], v[109:110]
	;; [unrolled: 1-line block ×3, first 2 shown]
	v_fma_f64 v[39:40], v[89:90], v[51:52], -v[53:54]
	v_fma_f64 v[41:42], v[71:72], v[55:56], -v[57:58]
	v_fma_f64 v[43:44], v[93:94], v[59:60], -v[61:62]
	ds_load_2addr_b64 v[6:9], v82 offset1:156
	s_waitcnt lgkmcnt(0)
	s_barrier
	buffer_gl0_inv
	v_add_f64 v[45:46], v[0:1], -v[97:98]
	v_add_f64 v[14:15], v[95:96], -v[14:15]
	v_add_f64 v[27:28], v[6:7], -v[27:28]
	v_add_f64 v[29:30], v[31:32], -v[29:30]
	v_add_f64 v[10:11], v[2:3], -v[10:11]
	v_add_f64 v[20:21], v[16:17], -v[20:21]
	v_add_f64 v[35:36], v[8:9], -v[35:36]
	v_add_f64 v[37:38], v[33:34], -v[37:38]
	v_add_f64 v[12:13], v[4:5], -v[12:13]
	v_add_f64 v[22:23], v[18:19], -v[22:23]
	v_add_f64 v[41:42], v[63:64], -v[41:42]
	v_add_f64 v[43:44], v[39:40], -v[43:44]
	v_fma_f64 v[0:1], v[0:1], 2.0, -v[45:46]
	v_fma_f64 v[47:48], v[95:96], 2.0, -v[14:15]
	;; [unrolled: 1-line block ×6, first 2 shown]
	v_add_f64 v[29:30], v[45:46], v[29:30]
	v_fma_f64 v[8:9], v[8:9], 2.0, -v[35:36]
	v_fma_f64 v[33:34], v[33:34], 2.0, -v[37:38]
	v_add_f64 v[51:52], v[27:28], -v[14:15]
	v_fma_f64 v[4:5], v[4:5], 2.0, -v[12:13]
	v_fma_f64 v[18:19], v[18:19], 2.0, -v[22:23]
	v_add_f64 v[37:38], v[10:11], v[37:38]
	v_fma_f64 v[49:50], v[63:64], 2.0, -v[41:42]
	v_fma_f64 v[39:40], v[39:40], 2.0, -v[43:44]
	v_add_f64 v[53:54], v[35:36], -v[20:21]
	v_add_f64 v[43:44], v[12:13], v[43:44]
	v_add_f64 v[55:56], v[41:42], -v[22:23]
	v_and_b32_e32 v21, 0xffff, v115
	v_and_b32_e32 v22, 0xffff, v114
	;; [unrolled: 1-line block ×3, first 2 shown]
	v_add_f64 v[47:48], v[0:1], -v[47:48]
	v_add_f64 v[31:32], v[6:7], -v[31:32]
	;; [unrolled: 1-line block ×3, first 2 shown]
	v_fma_f64 v[14:15], v[45:46], 2.0, -v[29:30]
	v_add_f64 v[33:34], v[8:9], -v[33:34]
	v_fma_f64 v[27:28], v[27:28], 2.0, -v[51:52]
	v_add_f64 v[18:19], v[4:5], -v[18:19]
	;; [unrolled: 2-line block ×3, first 2 shown]
	v_fma_f64 v[35:36], v[35:36], 2.0, -v[53:54]
	v_fma_f64 v[12:13], v[12:13], 2.0, -v[43:44]
	;; [unrolled: 1-line block ×5, first 2 shown]
	v_mul_u32_u24_e32 v6, 5, v80
	v_fma_f64 v[2:3], v[2:3], 2.0, -v[16:17]
	v_mul_u32_u24_e32 v7, 0x4e0, v20
	v_lshlrev_b32_e32 v20, 3, v25
	v_fma_f64 v[57:58], v[8:9], 2.0, -v[33:34]
	v_mul_u32_u24_e32 v8, 0x4e0, v21
	v_mul_u32_u24_e32 v9, 0x4e0, v22
	v_fma_f64 v[4:5], v[4:5], 2.0, -v[18:19]
	v_lshlrev_b32_e32 v21, 3, v75
	v_lshlrev_b32_e32 v22, 3, v116
	v_fma_f64 v[49:50], v[49:50], 2.0, -v[39:40]
	v_lshlrev_b32_e32 v25, 4, v6
	v_add3_u32 v59, 0, v7, v20
	v_add3_u32 v60, 0, v9, v21
	;; [unrolled: 1-line block ×3, first 2 shown]
	ds_store_2addr_b64 v60, v[47:48], v[29:30] offset0:78 offset1:117
	ds_store_2addr_b64 v60, v[0:1], v[14:15] offset1:39
	ds_store_2addr_b64 v59, v[2:3], v[10:11] offset1:39
	ds_store_2addr_b64 v59, v[16:17], v[37:38] offset0:78 offset1:117
	ds_store_2addr_b64 v61, v[4:5], v[12:13] offset1:39
	ds_store_2addr_b64 v61, v[18:19], v[43:44] offset0:78 offset1:117
	s_waitcnt lgkmcnt(0)
	s_barrier
	buffer_gl0_inv
	ds_load_2addr_b64 v[0:3], v82 offset1:156
	ds_load_2addr_b64 v[4:7], v84 offset0:56 offset1:212
	ds_load_2addr_b64 v[8:11], v81 offset0:48 offset1:204
	;; [unrolled: 1-line block ×5, first 2 shown]
	s_waitcnt lgkmcnt(0)
	s_barrier
	buffer_gl0_inv
	ds_store_2addr_b64 v60, v[45:46], v[27:28] offset1:39
	ds_store_2addr_b64 v60, v[31:32], v[51:52] offset0:78 offset1:117
	ds_store_2addr_b64 v59, v[57:58], v[35:36] offset1:39
	ds_store_2addr_b64 v59, v[33:34], v[53:54] offset0:78 offset1:117
	;; [unrolled: 2-line block ×3, first 2 shown]
	s_waitcnt lgkmcnt(0)
	s_barrier
	buffer_gl0_inv
	s_clause 0x4
	global_load_b128 v[27:30], v25, s[8:9] offset:2320
	global_load_b128 v[31:34], v25, s[8:9] offset:2352
	;; [unrolled: 1-line block ×5, first 2 shown]
	ds_load_2addr_b64 v[47:50], v85 offset0:40 offset1:196
	ds_load_2addr_b64 v[51:54], v86 offset0:24 offset1:180
	s_waitcnt vmcnt(4)
	v_mul_f64 v[55:56], v[12:13], v[29:30]
	s_waitcnt vmcnt(3)
	v_mul_f64 v[57:58], v[20:21], v[33:34]
	v_mul_f64 v[59:60], v[14:15], v[29:30]
	;; [unrolled: 1-line block ×3, first 2 shown]
	s_waitcnt vmcnt(2)
	v_mul_f64 v[63:64], v[4:5], v[37:38]
	s_waitcnt lgkmcnt(1)
	v_mul_f64 v[65:66], v[47:48], v[29:30]
	s_waitcnt lgkmcnt(0)
	v_mul_f64 v[67:68], v[51:52], v[33:34]
	v_mul_f64 v[69:70], v[6:7], v[37:38]
	v_mul_f64 v[29:30], v[49:50], v[29:30]
	v_mul_f64 v[33:34], v[53:54], v[33:34]
	v_fma_f64 v[71:72], v[47:48], v[27:28], -v[55:56]
	v_fma_f64 v[73:74], v[51:52], v[31:32], -v[57:58]
	;; [unrolled: 1-line block ×4, first 2 shown]
	ds_load_2addr_b64 v[47:50], v84 offset0:56 offset1:212
	ds_load_2addr_b64 v[51:54], v81 offset0:48 offset1:204
	;; [unrolled: 1-line block ×3, first 2 shown]
	v_fma_f64 v[12:13], v[12:13], v[27:28], v[65:66]
	v_fma_f64 v[20:21], v[20:21], v[31:32], v[67:68]
	;; [unrolled: 1-line block ×4, first 2 shown]
	s_waitcnt vmcnt(1)
	v_mul_f64 v[31:32], v[8:9], v[41:42]
	s_waitcnt vmcnt(0)
	v_mul_f64 v[33:34], v[16:17], v[45:46]
	s_waitcnt lgkmcnt(2)
	v_mul_f64 v[87:88], v[47:48], v[37:38]
	s_waitcnt lgkmcnt(1)
	;; [unrolled: 2-line block ×3, first 2 shown]
	v_mul_f64 v[91:92], v[55:56], v[45:46]
	v_fma_f64 v[47:48], v[47:48], v[35:36], -v[63:64]
	v_mul_f64 v[93:94], v[53:54], v[41:42]
	v_mul_f64 v[95:96], v[57:58], v[45:46]
	;; [unrolled: 1-line block ×3, first 2 shown]
	v_fma_f64 v[27:28], v[49:50], v[35:36], -v[69:70]
	v_mul_f64 v[41:42], v[10:11], v[41:42]
	v_mul_f64 v[45:46], v[18:19], v[45:46]
	v_add_f64 v[63:64], v[71:72], v[73:74]
	v_add_f64 v[29:30], v[59:60], v[61:62]
	v_add_f64 v[65:66], v[12:13], -v[20:21]
	v_fma_f64 v[31:32], v[51:52], v[39:40], -v[31:32]
	v_fma_f64 v[33:34], v[55:56], v[43:44], -v[33:34]
	v_add_f64 v[55:56], v[59:60], -v[61:62]
	v_fma_f64 v[49:50], v[4:5], v[35:36], v[87:88]
	v_fma_f64 v[8:9], v[8:9], v[39:40], v[89:90]
	;; [unrolled: 1-line block ×3, first 2 shown]
	v_add_f64 v[4:5], v[12:13], v[20:21]
	v_fma_f64 v[10:11], v[10:11], v[39:40], v[93:94]
	v_fma_f64 v[18:19], v[18:19], v[43:44], v[95:96]
	;; [unrolled: 1-line block ×3, first 2 shown]
	v_add_f64 v[6:7], v[14:15], v[22:23]
	v_add_f64 v[37:38], v[14:15], -v[22:23]
	v_fma_f64 v[39:40], v[53:54], v[39:40], -v[41:42]
	v_fma_f64 v[41:42], v[57:58], v[43:44], -v[45:46]
	v_add_f64 v[45:46], v[71:72], -v[73:74]
	v_fma_f64 v[63:64], v[63:64], -0.5, v[47:48]
	v_add_f64 v[47:48], v[47:48], v[71:72]
	v_fma_f64 v[29:30], v[29:30], -0.5, v[27:28]
	v_add_f64 v[27:28], v[27:28], v[59:60]
	v_add_f64 v[89:90], v[31:32], -v[33:34]
	v_add_f64 v[12:13], v[49:50], v[12:13]
	v_add_f64 v[87:88], v[0:1], v[8:9]
	;; [unrolled: 1-line block ×3, first 2 shown]
	v_fma_f64 v[53:54], v[4:5], -0.5, v[49:50]
	v_add_f64 v[49:50], v[2:3], v[10:11]
	v_add_f64 v[51:52], v[10:11], v[18:19]
	;; [unrolled: 1-line block ×3, first 2 shown]
	v_add_f64 v[8:9], v[8:9], -v[16:17]
	v_add_f64 v[10:11], v[10:11], -v[18:19]
	v_add_f64 v[69:70], v[39:40], v[41:42]
	v_add_f64 v[91:92], v[39:40], -v[41:42]
	v_fma_f64 v[57:58], v[65:66], s[2:3], v[63:64]
	v_fma_f64 v[63:64], v[65:66], s[4:5], v[63:64]
	v_fma_f64 v[65:66], v[6:7], -0.5, v[35:36]
	v_fma_f64 v[67:68], v[37:38], s[2:3], v[29:30]
	v_fma_f64 v[29:30], v[37:38], s[4:5], v[29:30]
	v_add_f64 v[37:38], v[31:32], v[33:34]
	ds_load_2addr_b64 v[4:7], v82 offset1:156
	v_add_f64 v[27:28], v[27:28], v[61:62]
	s_waitcnt lgkmcnt(0)
	s_barrier
	buffer_gl0_inv
	v_add_f64 v[12:13], v[12:13], v[20:21]
	v_add_f64 v[16:17], v[87:88], v[16:17]
	v_fma_f64 v[0:1], v[43:44], -0.5, v[0:1]
	v_fma_f64 v[35:36], v[45:46], s[4:5], v[53:54]
	v_fma_f64 v[43:44], v[45:46], s[2:3], v[53:54]
	v_fma_f64 v[2:3], v[51:52], -0.5, v[2:3]
	v_add_f64 v[31:32], v[4:5], v[31:32]
	v_add_f64 v[39:40], v[6:7], v[39:40]
	;; [unrolled: 1-line block ×4, first 2 shown]
	v_fma_f64 v[6:7], v[69:70], -0.5, v[6:7]
	v_mul_f64 v[45:46], v[57:58], s[4:5]
	v_mul_f64 v[51:52], v[63:64], s[4:5]
	v_fma_f64 v[53:54], v[55:56], s[4:5], v[65:66]
	v_fma_f64 v[55:56], v[55:56], s[2:3], v[65:66]
	v_mul_f64 v[65:66], v[67:68], s[4:5]
	v_mul_f64 v[93:94], v[29:30], s[4:5]
	v_fma_f64 v[4:5], v[37:38], -0.5, v[4:5]
	v_mul_f64 v[37:38], v[57:58], 0.5
	v_mul_f64 v[57:58], v[63:64], -0.5
	v_mul_f64 v[59:60], v[67:68], 0.5
	v_mul_f64 v[29:30], v[29:30], -0.5
	v_fma_f64 v[20:21], v[89:90], s[4:5], v[0:1]
	v_fma_f64 v[0:1], v[89:90], s[2:3], v[0:1]
	;; [unrolled: 1-line block ×4, first 2 shown]
	v_add_f64 v[31:32], v[31:32], v[33:34]
	v_add_f64 v[33:34], v[47:48], v[73:74]
	;; [unrolled: 1-line block ×3, first 2 shown]
	v_fma_f64 v[22:23], v[35:36], 0.5, v[45:46]
	v_fma_f64 v[45:46], v[43:44], -0.5, v[51:52]
	v_fma_f64 v[51:52], v[53:54], 0.5, v[65:66]
	v_fma_f64 v[63:64], v[55:56], -0.5, v[93:94]
	v_fma_f64 v[41:42], v[8:9], s[2:3], v[4:5]
	v_fma_f64 v[4:5], v[8:9], s[4:5], v[4:5]
	v_fma_f64 v[8:9], v[35:36], s[2:3], v[37:38]
	v_fma_f64 v[35:36], v[43:44], s[2:3], v[57:58]
	v_fma_f64 v[37:38], v[10:11], s[2:3], v[6:7]
	v_fma_f64 v[6:7], v[10:11], s[4:5], v[6:7]
	v_fma_f64 v[10:11], v[53:54], s[2:3], v[59:60]
	v_fma_f64 v[29:30], v[55:56], s[2:3], v[29:30]
	v_add_f64 v[43:44], v[16:17], v[12:13]
	v_add_f64 v[12:13], v[16:17], -v[12:13]
	v_add_f64 v[16:17], v[18:19], v[14:15]
	v_add_f64 v[14:15], v[18:19], -v[14:15]
	v_add_f64 v[18:19], v[20:21], v[22:23]
	v_add_f64 v[47:48], v[0:1], v[45:46]
	v_add_f64 v[20:21], v[20:21], -v[22:23]
	v_add_f64 v[0:1], v[0:1], -v[45:46]
	v_add_f64 v[22:23], v[49:50], v[51:52]
	v_add_f64 v[45:46], v[2:3], v[63:64]
	v_add_f64 v[49:50], v[49:50], -v[51:52]
	v_add_f64 v[2:3], v[2:3], -v[63:64]
	v_add_f64 v[51:52], v[31:32], v[33:34]
	v_add_f64 v[31:32], v[31:32], -v[33:34]
	v_add_f64 v[33:34], v[39:40], v[27:28]
	v_add_f64 v[27:28], v[39:40], -v[27:28]
	v_add_f64 v[39:40], v[41:42], v[8:9]
	v_add_f64 v[53:54], v[4:5], v[35:36]
	v_add_f64 v[41:42], v[41:42], -v[8:9]
	v_add_f64 v[35:36], v[4:5], -v[35:36]
	v_add_f64 v[55:56], v[37:38], v[10:11]
	v_add_f64 v[57:58], v[6:7], v[29:30]
	v_add_f64 v[37:38], v[37:38], -v[10:11]
	v_add_f64 v[29:30], v[6:7], -v[29:30]
	ds_store_2addr_b64 v82, v[43:44], v[18:19] offset1:156
	ds_store_2addr_b64 v84, v[47:48], v[12:13] offset0:56 offset1:212
	ds_store_2addr_b64 v81, v[20:21], v[0:1] offset0:48 offset1:204
	;; [unrolled: 1-line block ×5, first 2 shown]
	s_waitcnt lgkmcnt(0)
	s_barrier
	buffer_gl0_inv
	ds_load_2addr_b64 v[8:11], v82 offset1:156
	ds_load_2addr_b64 v[20:23], v85 offset0:40 offset1:196
	ds_load_2addr_b64 v[4:7], v84 offset0:56 offset1:212
	;; [unrolled: 1-line block ×5, first 2 shown]
	s_waitcnt lgkmcnt(0)
	s_barrier
	buffer_gl0_inv
	ds_store_2addr_b64 v82, v[51:52], v[39:40] offset1:156
	ds_store_2addr_b64 v84, v[53:54], v[31:32] offset0:56 offset1:212
	ds_store_2addr_b64 v81, v[41:42], v[35:36] offset0:48 offset1:204
	;; [unrolled: 1-line block ×5, first 2 shown]
	s_waitcnt lgkmcnt(0)
	s_barrier
	buffer_gl0_inv
	s_and_saveexec_b32 s2, vcc_lo
	s_cbranch_execz .LBB0_17
; %bb.16:
	v_dual_mov_b32 v64, 0 :: v_dual_add_nc_u32 v63, 0x30c, v80
	v_add_nc_u32_e32 v65, 0x270, v80
	v_add_nc_u32_e32 v55, 0x2400, v82
	v_mad_u64_u32 v[85:86], null, s0, v78, 0
	s_delay_alu instid0(VALU_DEP_4)
	v_mov_b32_e32 v66, v64
	v_lshlrev_b64 v[28:29], 4, v[63:64]
	v_mov_b32_e32 v27, v64
	v_mov_b32_e32 v25, v64
	v_mov_b32_e32 v81, v64
	v_lshlrev_b64 v[30:31], 4, v[65:66]
	v_add_nc_u32_e32 v87, 0x800, v82
	v_add_co_u32 v28, vcc_lo, s8, v28
	v_add_co_ci_u32_e32 v29, vcc_lo, s9, v29, vcc_lo
	v_lshlrev_b64 v[32:33], 4, v[26:27]
	s_delay_alu instid0(VALU_DEP_3) | instskip(NEXT) | instid1(VALU_DEP_3)
	v_add_co_u32 v27, vcc_lo, 0x3000, v28
	v_add_co_ci_u32_e32 v28, vcc_lo, 0, v29, vcc_lo
	v_add_co_u32 v45, vcc_lo, s8, v30
	v_lshlrev_b64 v[34:35], 4, v[24:25]
	v_add_co_ci_u32_e32 v46, vcc_lo, s9, v31, vcc_lo
	v_add_co_u32 v25, vcc_lo, s8, v32
	v_lshlrev_b64 v[66:67], 4, v[80:81]
	v_add_co_ci_u32_e32 v33, vcc_lo, s9, v33, vcc_lo
	v_add_co_u32 v31, vcc_lo, s8, v34
	v_add_co_ci_u32_e32 v32, vcc_lo, s9, v35, vcc_lo
	s_delay_alu instid0(VALU_DEP_4) | instskip(SKIP_1) | instid1(VALU_DEP_4)
	v_add_co_u32 v34, vcc_lo, s8, v66
	v_add_co_ci_u32_e32 v37, vcc_lo, s9, v67, vcc_lo
	v_add_co_u32 v31, vcc_lo, 0x3000, v31
	s_delay_alu instid0(VALU_DEP_4) | instskip(NEXT) | instid1(VALU_DEP_4)
	v_add_co_ci_u32_e32 v32, vcc_lo, 0, v32, vcc_lo
	v_add_co_u32 v35, vcc_lo, 0x4000, v34
	s_delay_alu instid0(VALU_DEP_4)
	v_add_co_ci_u32_e32 v36, vcc_lo, 0, v37, vcc_lo
	v_add_co_u32 v39, vcc_lo, 0x3000, v34
	v_add_co_ci_u32_e32 v40, vcc_lo, 0, v37, vcc_lo
	v_add_co_u32 v43, vcc_lo, 0x3000, v25
	;; [unrolled: 2-line block ×3, first 2 shown]
	s_clause 0x3
	global_load_b128 v[27:30], v[27:28], off offset:2480
	global_load_b128 v[31:34], v[31:32], off offset:2480
	;; [unrolled: 1-line block ×4, first 2 shown]
	v_add_co_ci_u32_e32 v48, vcc_lo, 0, v46, vcc_lo
	s_clause 0x1
	global_load_b128 v[43:46], v[43:44], off offset:2480
	global_load_b128 v[47:50], v[47:48], off offset:2480
	v_add_nc_u32_e32 v25, 0x1c00, v82
	v_mul_lo_u32 v79, s0, v79
	v_lshrrev_b32_e32 v88, 3, v24
	ds_load_2addr_b64 v[51:54], v25 offset0:40 offset1:196
	v_add_nc_u32_e32 v25, 0x3000, v82
	ds_load_2addr_b64 v[55:58], v55 offset0:96 offset1:252
	ds_load_2addr_b64 v[59:62], v25 offset0:24 offset1:180
	v_mul_lo_u32 v25, s1, v78
	v_add_nc_u32_e32 v78, 0x1200, v82
	s_delay_alu instid0(VALU_DEP_2)
	v_add3_u32 v86, v86, v79, v25
	v_mov_b32_e32 v79, v64
	s_waitcnt vmcnt(4)
	v_mul_f64 v[70:71], v[16:17], v[33:34]
	v_mul_f64 v[68:69], v[14:15], v[29:30]
	s_waitcnt vmcnt(2)
	v_mul_f64 v[74:75], v[20:21], v[41:42]
	s_waitcnt lgkmcnt(2)
	v_mul_f64 v[41:42], v[51:52], v[41:42]
	v_mul_f64 v[72:73], v[22:23], v[37:38]
	;; [unrolled: 1-line block ×3, first 2 shown]
	s_waitcnt lgkmcnt(1)
	v_mul_f64 v[33:34], v[55:56], v[33:34]
	s_waitcnt vmcnt(1)
	v_mul_f64 v[80:81], v[18:19], v[45:46]
	v_mul_f64 v[45:46], v[57:58], v[45:46]
	s_waitcnt vmcnt(0)
	v_mul_f64 v[83:84], v[12:13], v[49:50]
	s_waitcnt lgkmcnt(0)
	v_mul_f64 v[49:50], v[59:60], v[49:50]
	v_mul_f64 v[29:30], v[61:62], v[29:30]
	v_fma_f64 v[55:56], v[55:56], v[31:32], -v[70:71]
	v_fma_f64 v[61:62], v[61:62], v[27:28], -v[68:69]
	;; [unrolled: 1-line block ×3, first 2 shown]
	v_fma_f64 v[40:41], v[20:21], v[39:40], v[41:42]
	v_fma_f64 v[53:54], v[53:54], v[35:36], -v[72:73]
	v_fma_f64 v[68:69], v[22:23], v[35:36], v[37:38]
	v_fma_f64 v[70:71], v[16:17], v[31:32], v[33:34]
	v_fma_f64 v[57:58], v[57:58], v[43:44], -v[80:81]
	v_fma_f64 v[44:45], v[18:19], v[43:44], v[45:46]
	v_fma_f64 v[59:60], v[59:60], v[47:48], -v[83:84]
	v_fma_f64 v[48:49], v[12:13], v[47:48], v[49:50]
	v_mov_b32_e32 v50, v64
	v_fma_f64 v[72:73], v[14:15], v[27:28], v[29:30]
	v_lshrrev_b32_e32 v27, 3, v26
	ds_load_2addr_b64 v[12:15], v82 offset1:156
	ds_load_2addr_b64 v[16:19], v78 offset0:48 offset1:204
	ds_load_2addr_b64 v[20:23], v87 offset0:56 offset1:212
	v_mul_hi_u32 v28, 0x8c08c09, v88
	v_lshrrev_b32_e32 v29, 3, v65
	v_lshrrev_b32_e32 v30, 3, v63
	v_mul_hi_u32 v27, 0x8c08c09, v27
	v_lshlrev_b64 v[74:75], 4, v[76:77]
	v_mov_b32_e32 v77, v64
	v_mul_hi_u32 v25, 0x8c08c09, v29
	v_mul_hi_u32 v29, 0x8c08c09, v30
	v_lshrrev_b32_e32 v30, 2, v28
	v_lshrrev_b32_e32 v31, 2, v27
	v_lshlrev_b64 v[27:28], 4, v[85:86]
	s_delay_alu instid0(VALU_DEP_3)
	v_mad_u32_u24 v76, 0x3a8, v30, v24
	v_lshrrev_b32_e32 v80, 2, v25
	v_lshrrev_b32_e32 v81, 2, v29
	v_mad_u32_u24 v78, 0x3a8, v31, v26
	v_add_co_u32 v82, vcc_lo, s6, v27
	v_add_co_ci_u32_e32 v83, vcc_lo, s7, v28, vcc_lo
	s_delay_alu instid0(VALU_DEP_4)
	v_mad_u32_u24 v63, 0x3a8, v81, v63
	s_waitcnt lgkmcnt(0)
	v_add_f64 v[30:31], v[20:21], -v[55:56]
	v_add_f64 v[26:27], v[18:19], -v[61:62]
	v_add_f64 v[38:39], v[12:13], -v[51:52]
	v_add_f64 v[36:37], v[8:9], -v[40:41]
	v_add_f64 v[34:35], v[14:15], -v[53:54]
	v_add_f64 v[32:33], v[10:11], -v[68:69]
	v_add_f64 v[28:29], v[4:5], -v[70:71]
	v_add_f64 v[42:43], v[22:23], -v[57:58]
	v_add_f64 v[40:41], v[6:7], -v[44:45]
	v_add_f64 v[46:47], v[16:17], -v[59:60]
	v_add_f64 v[44:45], v[0:1], -v[48:49]
	v_add_co_u32 v68, vcc_lo, v82, v74
	v_add_f64 v[24:25], v[2:3], -v[72:73]
	v_lshlrev_b64 v[51:52], 4, v[76:77]
	v_add_co_ci_u32_e32 v69, vcc_lo, v83, v75, vcc_lo
	v_lshlrev_b64 v[53:54], 4, v[78:79]
	v_add_co_u32 v60, vcc_lo, v68, v66
	s_delay_alu instid0(VALU_DEP_3)
	v_add_co_ci_u32_e32 v61, vcc_lo, v69, v67, vcc_lo
	v_add_co_u32 v62, vcc_lo, v68, v51
	v_mad_u32_u24 v49, 0x3a8, v80, v65
	v_lshlrev_b64 v[58:59], 4, v[63:64]
	v_add_co_ci_u32_e32 v63, vcc_lo, v69, v52, vcc_lo
	v_add_co_u32 v64, vcc_lo, v68, v53
	v_add_co_ci_u32_e32 v65, vcc_lo, v69, v54, vcc_lo
	v_lshlrev_b64 v[56:57], 4, v[49:50]
	v_add_co_u32 v66, vcc_lo, 0x3000, v60
	v_add_co_ci_u32_e32 v67, vcc_lo, 0, v61, vcc_lo
	v_fma_f64 v[50:51], v[20:21], 2.0, -v[30:31]
	v_fma_f64 v[18:19], v[18:19], 2.0, -v[26:27]
	;; [unrolled: 1-line block ×11, first 2 shown]
	v_add_co_u32 v0, vcc_lo, 0x4000, v60
	v_fma_f64 v[16:17], v[2:3], 2.0, -v[24:25]
	v_add_co_ci_u32_e32 v1, vcc_lo, 0, v61, vcc_lo
	v_add_co_u32 v2, vcc_lo, 0x3000, v62
	v_add_co_ci_u32_e32 v3, vcc_lo, 0, v63, vcc_lo
	v_add_co_u32 v4, vcc_lo, 0x3000, v64
	;; [unrolled: 2-line block ×4, first 2 shown]
	v_add_co_ci_u32_e32 v57, vcc_lo, v69, v59, vcc_lo
	s_delay_alu instid0(VALU_DEP_4) | instskip(NEXT) | instid1(VALU_DEP_4)
	v_add_co_u32 v58, vcc_lo, 0x3000, v10
	v_add_co_ci_u32_e32 v59, vcc_lo, 0, v11, vcc_lo
	s_delay_alu instid0(VALU_DEP_4) | instskip(NEXT) | instid1(VALU_DEP_4)
	v_add_co_u32 v68, vcc_lo, 0x3000, v56
	v_add_co_ci_u32_e32 v69, vcc_lo, 0, v57, vcc_lo
	s_clause 0xb
	global_store_b128 v[66:67], v[36:39], off offset:2688
	global_store_b128 v[0:1], v[32:35], off offset:1088
	global_store_b128 v[60:61], v[52:55], off
	global_store_b128 v[60:61], v[12:15], off offset:2496
	global_store_b128 v[62:63], v[48:51], off
	;; [unrolled: 2-line block ×5, first 2 shown]
	global_store_b128 v[68:69], v[24:27], off offset:2688
.LBB0_17:
	s_nop 0
	s_sendmsg sendmsg(MSG_DEALLOC_VGPRS)
	s_endpgm
	.section	.rodata,"a",@progbits
	.p2align	6, 0x0
	.amdhsa_kernel fft_rtc_back_len1872_factors_13_3_4_6_2_wgs_156_tpt_156_halfLds_dp_op_CI_CI_unitstride_sbrr_dirReg
		.amdhsa_group_segment_fixed_size 0
		.amdhsa_private_segment_fixed_size 0
		.amdhsa_kernarg_size 104
		.amdhsa_user_sgpr_count 15
		.amdhsa_user_sgpr_dispatch_ptr 0
		.amdhsa_user_sgpr_queue_ptr 0
		.amdhsa_user_sgpr_kernarg_segment_ptr 1
		.amdhsa_user_sgpr_dispatch_id 0
		.amdhsa_user_sgpr_private_segment_size 0
		.amdhsa_wavefront_size32 1
		.amdhsa_uses_dynamic_stack 0
		.amdhsa_enable_private_segment 0
		.amdhsa_system_sgpr_workgroup_id_x 1
		.amdhsa_system_sgpr_workgroup_id_y 0
		.amdhsa_system_sgpr_workgroup_id_z 0
		.amdhsa_system_sgpr_workgroup_info 0
		.amdhsa_system_vgpr_workitem_id 0
		.amdhsa_next_free_vgpr 147
		.amdhsa_next_free_sgpr 46
		.amdhsa_reserve_vcc 1
		.amdhsa_float_round_mode_32 0
		.amdhsa_float_round_mode_16_64 0
		.amdhsa_float_denorm_mode_32 3
		.amdhsa_float_denorm_mode_16_64 3
		.amdhsa_dx10_clamp 1
		.amdhsa_ieee_mode 1
		.amdhsa_fp16_overflow 0
		.amdhsa_workgroup_processor_mode 1
		.amdhsa_memory_ordered 1
		.amdhsa_forward_progress 0
		.amdhsa_shared_vgpr_count 0
		.amdhsa_exception_fp_ieee_invalid_op 0
		.amdhsa_exception_fp_denorm_src 0
		.amdhsa_exception_fp_ieee_div_zero 0
		.amdhsa_exception_fp_ieee_overflow 0
		.amdhsa_exception_fp_ieee_underflow 0
		.amdhsa_exception_fp_ieee_inexact 0
		.amdhsa_exception_int_div_zero 0
	.end_amdhsa_kernel
	.text
.Lfunc_end0:
	.size	fft_rtc_back_len1872_factors_13_3_4_6_2_wgs_156_tpt_156_halfLds_dp_op_CI_CI_unitstride_sbrr_dirReg, .Lfunc_end0-fft_rtc_back_len1872_factors_13_3_4_6_2_wgs_156_tpt_156_halfLds_dp_op_CI_CI_unitstride_sbrr_dirReg
                                        ; -- End function
	.section	.AMDGPU.csdata,"",@progbits
; Kernel info:
; codeLenInByte = 11472
; NumSgprs: 48
; NumVgprs: 147
; ScratchSize: 0
; MemoryBound: 1
; FloatMode: 240
; IeeeMode: 1
; LDSByteSize: 0 bytes/workgroup (compile time only)
; SGPRBlocks: 5
; VGPRBlocks: 18
; NumSGPRsForWavesPerEU: 48
; NumVGPRsForWavesPerEU: 147
; Occupancy: 9
; WaveLimiterHint : 1
; COMPUTE_PGM_RSRC2:SCRATCH_EN: 0
; COMPUTE_PGM_RSRC2:USER_SGPR: 15
; COMPUTE_PGM_RSRC2:TRAP_HANDLER: 0
; COMPUTE_PGM_RSRC2:TGID_X_EN: 1
; COMPUTE_PGM_RSRC2:TGID_Y_EN: 0
; COMPUTE_PGM_RSRC2:TGID_Z_EN: 0
; COMPUTE_PGM_RSRC2:TIDIG_COMP_CNT: 0
	.text
	.p2alignl 7, 3214868480
	.fill 96, 4, 3214868480
	.type	__hip_cuid_ffab0cbc833260c1,@object ; @__hip_cuid_ffab0cbc833260c1
	.section	.bss,"aw",@nobits
	.globl	__hip_cuid_ffab0cbc833260c1
__hip_cuid_ffab0cbc833260c1:
	.byte	0                               ; 0x0
	.size	__hip_cuid_ffab0cbc833260c1, 1

	.ident	"AMD clang version 19.0.0git (https://github.com/RadeonOpenCompute/llvm-project roc-6.4.0 25133 c7fe45cf4b819c5991fe208aaa96edf142730f1d)"
	.section	".note.GNU-stack","",@progbits
	.addrsig
	.addrsig_sym __hip_cuid_ffab0cbc833260c1
	.amdgpu_metadata
---
amdhsa.kernels:
  - .args:
      - .actual_access:  read_only
        .address_space:  global
        .offset:         0
        .size:           8
        .value_kind:     global_buffer
      - .offset:         8
        .size:           8
        .value_kind:     by_value
      - .actual_access:  read_only
        .address_space:  global
        .offset:         16
        .size:           8
        .value_kind:     global_buffer
      - .actual_access:  read_only
        .address_space:  global
        .offset:         24
        .size:           8
        .value_kind:     global_buffer
      - .actual_access:  read_only
        .address_space:  global
        .offset:         32
        .size:           8
        .value_kind:     global_buffer
      - .offset:         40
        .size:           8
        .value_kind:     by_value
      - .actual_access:  read_only
        .address_space:  global
        .offset:         48
        .size:           8
        .value_kind:     global_buffer
      - .actual_access:  read_only
        .address_space:  global
        .offset:         56
        .size:           8
        .value_kind:     global_buffer
      - .offset:         64
        .size:           4
        .value_kind:     by_value
      - .actual_access:  read_only
        .address_space:  global
        .offset:         72
        .size:           8
        .value_kind:     global_buffer
      - .actual_access:  read_only
        .address_space:  global
        .offset:         80
        .size:           8
        .value_kind:     global_buffer
      - .actual_access:  read_only
        .address_space:  global
        .offset:         88
        .size:           8
        .value_kind:     global_buffer
      - .actual_access:  write_only
        .address_space:  global
        .offset:         96
        .size:           8
        .value_kind:     global_buffer
    .group_segment_fixed_size: 0
    .kernarg_segment_align: 8
    .kernarg_segment_size: 104
    .language:       OpenCL C
    .language_version:
      - 2
      - 0
    .max_flat_workgroup_size: 156
    .name:           fft_rtc_back_len1872_factors_13_3_4_6_2_wgs_156_tpt_156_halfLds_dp_op_CI_CI_unitstride_sbrr_dirReg
    .private_segment_fixed_size: 0
    .sgpr_count:     48
    .sgpr_spill_count: 0
    .symbol:         fft_rtc_back_len1872_factors_13_3_4_6_2_wgs_156_tpt_156_halfLds_dp_op_CI_CI_unitstride_sbrr_dirReg.kd
    .uniform_work_group_size: 1
    .uses_dynamic_stack: false
    .vgpr_count:     147
    .vgpr_spill_count: 0
    .wavefront_size: 32
    .workgroup_processor_mode: 1
amdhsa.target:   amdgcn-amd-amdhsa--gfx1100
amdhsa.version:
  - 1
  - 2
...

	.end_amdgpu_metadata
